;; amdgpu-corpus repo=zjin-lcf/HeCBench kind=compiled arch=gfx90a opt=O3
	.text
	.amdgcn_target "amdgcn-amd-amdhsa--gfx90a"
	.amdhsa_code_object_version 6
	.protected	_Z7cenergyifPfPK15HIP_vector_typeIfLj4EE ; -- Begin function _Z7cenergyifPfPK15HIP_vector_typeIfLj4EE
	.globl	_Z7cenergyifPfPK15HIP_vector_typeIfLj4EE
	.p2align	8
	.type	_Z7cenergyifPfPK15HIP_vector_typeIfLj4EE,@function
_Z7cenergyifPfPK15HIP_vector_typeIfLj4EE: ; @_Z7cenergyifPfPK15HIP_vector_typeIfLj4EE
; %bb.0:
	s_load_dword s0, s[4:5], 0x24
	s_load_dwordx2 s[24:25], s[4:5], 0x0
	s_load_dwordx4 s[16:19], s[4:5], 0x8
	v_and_b32_e32 v1, 0x3ff, v0
	v_bfe_u32 v0, v0, 10, 10
	s_waitcnt lgkmcnt(0)
	s_lshr_b32 s1, s0, 16
	s_and_b32 s26, s0, 0xffff
	s_mul_i32 s7, s7, s1
	s_mul_i32 s6, s6, s26
	v_lshl_add_u32 v12, s6, 3, v1
	s_cmp_lt_i32 s24, 1
	v_add_u32_e32 v13, s7, v0
	s_cbranch_scc1 .LBB0_3
; %bb.1:
	v_cvt_f32_u32_e32 v3, v13
	v_cvt_f32_u32_e32 v2, v12
	v_mov_b32_e32 v0, 0x41000000
	s_add_u32 s18, s18, 8
	v_mul_f32_e32 v0, s25, v0
	v_pk_mul_f32 v[2:3], s[24:25], v[2:3] op_sel:[1,0]
	s_addc_u32 s19, s19, 0
	v_mov_b32_e32 v4, 0
	s_mov_b32 s25, 0x800000
	v_mov_b32_e32 v5, 0
	v_mov_b32_e32 v6, 0
	;; [unrolled: 1-line block ×7, first 2 shown]
.LBB0_2:                                ; =>This Inner Loop Header: Depth=1
	s_add_u32 s0, s18, -8
	s_addc_u32 s1, s19, -1
	s_load_dwordx4 s[20:23], s[0:1], 0x0
	v_mov_b32_e32 v15, v0
	s_add_i32 s24, s24, -1
	s_add_u32 s18, s18, 16
	s_addc_u32 s19, s19, 0
	s_waitcnt lgkmcnt(0)
	v_pk_add_f32 v[16:17], v[2:3], s[20:21] neg_lo:[0,1] neg_hi:[0,1]
	v_mov_b32_e32 v1, v17
	v_pk_mul_f32 v[18:19], v[16:17], v[16:17]
	v_pk_add_f32 v[16:17], v[0:1], v[16:17]
	v_mov_b32_e32 v14, s22
	v_mov_b32_e32 v20, v19
	v_mov_b32_e32 v21, v16
	v_pk_add_f32 v[14:15], v[14:15], v[20:21]
	v_add_f32_e32 v1, v0, v15
	v_add_f32_e32 v17, v14, v18
	v_fma_f32 v15, v15, v15, v14
	v_fma_f32 v16, v16, v16, v14
	v_add_f32_e32 v18, v0, v1
	v_mul_f32_e32 v19, 0x4b800000, v17
	v_mul_f32_e32 v21, 0x4b800000, v15
	v_cmp_gt_f32_e64 s[0:1], s25, v15
	v_fma_f32 v1, v1, v1, v14
	v_cmp_gt_f32_e64 s[2:3], s25, v17
	v_mul_f32_e32 v20, 0x4b800000, v16
	v_cmp_gt_f32_e32 vcc, s25, v16
	v_add_f32_e32 v22, v0, v18
	v_cndmask_b32_e64 v17, v17, v19, s[2:3]
	v_cndmask_b32_e64 v15, v15, v21, s[0:1]
	v_mul_f32_e32 v19, 0x4b800000, v1
	v_fma_f32 v18, v18, v18, v14
	v_cmp_gt_f32_e64 s[6:7], s25, v1
	v_cndmask_b32_e32 v16, v16, v20, vcc
	v_add_f32_e32 v20, v0, v22
	v_rsq_f32_e32 v15, v15
	v_cndmask_b32_e64 v1, v1, v19, s[6:7]
	v_mul_f32_e32 v19, 0x4b800000, v18
	v_fma_f32 v21, v22, v22, v14
	v_cmp_gt_f32_e64 s[8:9], s25, v18
	v_add_f32_e32 v22, v0, v20
	v_rsq_f32_e32 v1, v1
	v_cndmask_b32_e64 v18, v18, v19, s[8:9]
	v_mul_f32_e32 v19, 0x4b800000, v21
	v_fma_f32 v20, v20, v20, v14
	v_cmp_gt_f32_e64 s[10:11], s25, v21
	v_rsq_f32_e32 v18, v18
	v_cndmask_b32_e64 v19, v21, v19, s[10:11]
	v_mul_f32_e32 v21, 0x4b800000, v20
	v_fmac_f32_e32 v14, v22, v22
	v_cmp_gt_f32_e64 s[12:13], s25, v20
	v_rsq_f32_e32 v19, v19
	v_cndmask_b32_e64 v20, v20, v21, s[12:13]
	v_mul_f32_e32 v21, 0x4b800000, v14
	v_cmp_gt_f32_e64 s[14:15], s25, v14
	v_mul_f32_e32 v24, 0x45800000, v15
	v_rsq_f32_e32 v20, v20
	v_cndmask_b32_e64 v14, v14, v21, s[14:15]
	v_rsq_f32_e32 v17, v17
	v_rsq_f32_e32 v16, v16
	v_cndmask_b32_e64 v15, v15, v24, s[0:1]
	v_mul_f32_e32 v21, 0x45800000, v1
	v_rsq_f32_e32 v14, v14
	v_fmac_f32_e32 v6, s23, v15
	v_cndmask_b32_e64 v1, v1, v21, s[6:7]
	v_mul_f32_e32 v15, 0x45800000, v18
	v_fmac_f32_e32 v7, s23, v1
	v_cndmask_b32_e64 v1, v18, v15, s[8:9]
	v_mul_f32_e32 v15, 0x45800000, v19
	;; [unrolled: 3-line block ×3, first 2 shown]
	v_mul_f32_e32 v22, 0x45800000, v17
	v_mul_f32_e32 v23, 0x45800000, v16
	v_fmac_f32_e32 v9, s23, v1
	v_cndmask_b32_e64 v1, v20, v15, s[12:13]
	v_mul_f32_e32 v15, 0x45800000, v14
	v_cndmask_b32_e64 v17, v17, v22, s[2:3]
	v_cndmask_b32_e32 v16, v16, v23, vcc
	v_fmac_f32_e32 v10, s23, v1
	v_cndmask_b32_e64 v1, v14, v15, s[14:15]
	s_cmp_lg_u32 s24, 0
	v_fmac_f32_e32 v4, s23, v17
	v_fmac_f32_e32 v5, s23, v16
	;; [unrolled: 1-line block ×3, first 2 shown]
	s_cbranch_scc1 .LBB0_2
	s_branch .LBB0_4
.LBB0_3:
	v_mov_b32_e32 v4, 0
	v_mov_b32_e32 v5, 0
	v_mov_b32_e32 v6, 0
	v_mov_b32_e32 v7, 0
	v_mov_b32_e32 v8, 0
	v_mov_b32_e32 v9, 0
	v_mov_b32_e32 v10, 0
	v_mov_b32_e32 v11, 0
.LBB0_4:
	s_load_dword s0, s[4:5], 0x18
	v_mov_b32_e32 v1, 0
	v_mov_b32_e32 v14, s17
	;; [unrolled: 1-line block ×4, first 2 shown]
	s_waitcnt lgkmcnt(0)
	s_mul_i32 s0, s0, s26
	v_mul_lo_u32 v0, s0, v13
	v_lshl_add_u32 v0, v0, 3, v12
	v_lshlrev_b64 v[2:3], 2, v[0:1]
	v_mov_b32_e32 v12, s17
	v_add_co_u32_e32 v2, vcc, s16, v2
	v_addc_co_u32_e32 v3, vcc, v12, v3, vcc
	v_add_u32_e32 v12, 8, v0
	v_mov_b32_e32 v13, v1
	v_lshlrev_b64 v[12:13], 2, v[12:13]
	v_add_co_u32_e32 v12, vcc, s16, v12
	v_addc_co_u32_e32 v13, vcc, v14, v13, vcc
	v_add_u32_e32 v14, 16, v0
	v_lshlrev_b64 v[14:15], 2, v[14:15]
	v_add_co_u32_e32 v14, vcc, s16, v14
	v_addc_co_u32_e32 v15, vcc, v16, v15, vcc
	v_add_u32_e32 v16, 24, v0
	v_mov_b32_e32 v17, v1
	v_lshlrev_b64 v[16:17], 2, v[16:17]
	v_mov_b32_e32 v18, s17
	v_add_co_u32_e32 v16, vcc, s16, v16
	v_addc_co_u32_e32 v17, vcc, v18, v17, vcc
	v_add_u32_e32 v18, 32, v0
	v_mov_b32_e32 v19, v1
	v_lshlrev_b64 v[18:19], 2, v[18:19]
	v_mov_b32_e32 v20, s17
	;; [unrolled: 6-line block ×4, first 2 shown]
	v_add_co_u32_e32 v22, vcc, s16, v22
	v_add_u32_e32 v0, 56, v0
	global_load_dword v24, v[2:3], off
	v_addc_co_u32_e32 v23, vcc, v25, v23, vcc
	v_lshlrev_b64 v[0:1], 2, v[0:1]
	v_add_co_u32_e32 v0, vcc, s16, v0
	v_addc_co_u32_e32 v1, vcc, v25, v1, vcc
	global_load_dword v25, v[12:13], off
	global_load_dword v26, v[14:15], off
	;; [unrolled: 1-line block ×7, first 2 shown]
	s_waitcnt vmcnt(7)
	v_add_f32_e32 v4, v4, v24
	global_store_dword v[2:3], v4, off
	s_waitcnt vmcnt(7)
	v_add_f32_e32 v2, v5, v25
	s_waitcnt vmcnt(6)
	v_add_f32_e32 v3, v6, v26
	s_waitcnt vmcnt(5)
	v_add_f32_e32 v4, v7, v27
	s_waitcnt vmcnt(4)
	v_add_f32_e32 v5, v8, v28
	s_waitcnt vmcnt(3)
	v_add_f32_e32 v6, v9, v29
	s_waitcnt vmcnt(2)
	v_add_f32_e32 v7, v10, v30
	s_waitcnt vmcnt(1)
	v_add_f32_e32 v8, v11, v31
	global_store_dword v[12:13], v2, off
	global_store_dword v[14:15], v3, off
	;; [unrolled: 1-line block ×7, first 2 shown]
	s_endpgm
	.section	.rodata,"a",@progbits
	.p2align	6, 0x0
	.amdhsa_kernel _Z7cenergyifPfPK15HIP_vector_typeIfLj4EE
		.amdhsa_group_segment_fixed_size 0
		.amdhsa_private_segment_fixed_size 0
		.amdhsa_kernarg_size 280
		.amdhsa_user_sgpr_count 6
		.amdhsa_user_sgpr_private_segment_buffer 1
		.amdhsa_user_sgpr_dispatch_ptr 0
		.amdhsa_user_sgpr_queue_ptr 0
		.amdhsa_user_sgpr_kernarg_segment_ptr 1
		.amdhsa_user_sgpr_dispatch_id 0
		.amdhsa_user_sgpr_flat_scratch_init 0
		.amdhsa_user_sgpr_kernarg_preload_length 0
		.amdhsa_user_sgpr_kernarg_preload_offset 0
		.amdhsa_user_sgpr_private_segment_size 0
		.amdhsa_uses_dynamic_stack 0
		.amdhsa_system_sgpr_private_segment_wavefront_offset 0
		.amdhsa_system_sgpr_workgroup_id_x 1
		.amdhsa_system_sgpr_workgroup_id_y 1
		.amdhsa_system_sgpr_workgroup_id_z 0
		.amdhsa_system_sgpr_workgroup_info 0
		.amdhsa_system_vgpr_workitem_id 1
		.amdhsa_next_free_vgpr 32
		.amdhsa_next_free_sgpr 27
		.amdhsa_accum_offset 32
		.amdhsa_reserve_vcc 1
		.amdhsa_reserve_flat_scratch 0
		.amdhsa_float_round_mode_32 0
		.amdhsa_float_round_mode_16_64 0
		.amdhsa_float_denorm_mode_32 3
		.amdhsa_float_denorm_mode_16_64 3
		.amdhsa_dx10_clamp 1
		.amdhsa_ieee_mode 1
		.amdhsa_fp16_overflow 0
		.amdhsa_tg_split 0
		.amdhsa_exception_fp_ieee_invalid_op 0
		.amdhsa_exception_fp_denorm_src 0
		.amdhsa_exception_fp_ieee_div_zero 0
		.amdhsa_exception_fp_ieee_overflow 0
		.amdhsa_exception_fp_ieee_underflow 0
		.amdhsa_exception_fp_ieee_inexact 0
		.amdhsa_exception_int_div_zero 0
	.end_amdhsa_kernel
	.text
.Lfunc_end0:
	.size	_Z7cenergyifPfPK15HIP_vector_typeIfLj4EE, .Lfunc_end0-_Z7cenergyifPfPK15HIP_vector_typeIfLj4EE
                                        ; -- End function
	.section	.AMDGPU.csdata,"",@progbits
; Kernel info:
; codeLenInByte = 1176
; NumSgprs: 31
; NumVgprs: 32
; NumAgprs: 0
; TotalNumVgprs: 32
; ScratchSize: 0
; MemoryBound: 0
; FloatMode: 240
; IeeeMode: 1
; LDSByteSize: 0 bytes/workgroup (compile time only)
; SGPRBlocks: 3
; VGPRBlocks: 3
; NumSGPRsForWavesPerEU: 31
; NumVGPRsForWavesPerEU: 32
; AccumOffset: 32
; Occupancy: 8
; WaveLimiterHint : 0
; COMPUTE_PGM_RSRC2:SCRATCH_EN: 0
; COMPUTE_PGM_RSRC2:USER_SGPR: 6
; COMPUTE_PGM_RSRC2:TRAP_HANDLER: 0
; COMPUTE_PGM_RSRC2:TGID_X_EN: 1
; COMPUTE_PGM_RSRC2:TGID_Y_EN: 1
; COMPUTE_PGM_RSRC2:TGID_Z_EN: 0
; COMPUTE_PGM_RSRC2:TIDIG_COMP_CNT: 1
; COMPUTE_PGM_RSRC3_GFX90A:ACCUM_OFFSET: 7
; COMPUTE_PGM_RSRC3_GFX90A:TG_SPLIT: 0
	.text
	.p2alignl 6, 3212836864
	.fill 256, 4, 3212836864
	.type	__hip_cuid_bcf309a1c4d84271,@object ; @__hip_cuid_bcf309a1c4d84271
	.section	.bss,"aw",@nobits
	.globl	__hip_cuid_bcf309a1c4d84271
__hip_cuid_bcf309a1c4d84271:
	.byte	0                               ; 0x0
	.size	__hip_cuid_bcf309a1c4d84271, 1

	.ident	"AMD clang version 19.0.0git (https://github.com/RadeonOpenCompute/llvm-project roc-6.4.0 25133 c7fe45cf4b819c5991fe208aaa96edf142730f1d)"
	.section	".note.GNU-stack","",@progbits
	.addrsig
	.addrsig_sym __hip_cuid_bcf309a1c4d84271
	.amdgpu_metadata
---
amdhsa.kernels:
  - .agpr_count:     0
    .args:
      - .offset:         0
        .size:           4
        .value_kind:     by_value
      - .offset:         4
        .size:           4
        .value_kind:     by_value
      - .address_space:  global
        .offset:         8
        .size:           8
        .value_kind:     global_buffer
      - .address_space:  global
        .offset:         16
        .size:           8
        .value_kind:     global_buffer
      - .offset:         24
        .size:           4
        .value_kind:     hidden_block_count_x
      - .offset:         28
        .size:           4
        .value_kind:     hidden_block_count_y
      - .offset:         32
        .size:           4
        .value_kind:     hidden_block_count_z
      - .offset:         36
        .size:           2
        .value_kind:     hidden_group_size_x
      - .offset:         38
        .size:           2
        .value_kind:     hidden_group_size_y
      - .offset:         40
        .size:           2
        .value_kind:     hidden_group_size_z
      - .offset:         42
        .size:           2
        .value_kind:     hidden_remainder_x
      - .offset:         44
        .size:           2
        .value_kind:     hidden_remainder_y
      - .offset:         46
        .size:           2
        .value_kind:     hidden_remainder_z
      - .offset:         64
        .size:           8
        .value_kind:     hidden_global_offset_x
      - .offset:         72
        .size:           8
        .value_kind:     hidden_global_offset_y
      - .offset:         80
        .size:           8
        .value_kind:     hidden_global_offset_z
      - .offset:         88
        .size:           2
        .value_kind:     hidden_grid_dims
    .group_segment_fixed_size: 0
    .kernarg_segment_align: 8
    .kernarg_segment_size: 280
    .language:       OpenCL C
    .language_version:
      - 2
      - 0
    .max_flat_workgroup_size: 1024
    .name:           _Z7cenergyifPfPK15HIP_vector_typeIfLj4EE
    .private_segment_fixed_size: 0
    .sgpr_count:     31
    .sgpr_spill_count: 0
    .symbol:         _Z7cenergyifPfPK15HIP_vector_typeIfLj4EE.kd
    .uniform_work_group_size: 1
    .uses_dynamic_stack: false
    .vgpr_count:     32
    .vgpr_spill_count: 0
    .wavefront_size: 64
amdhsa.target:   amdgcn-amd-amdhsa--gfx90a
amdhsa.version:
  - 1
  - 2
...

	.end_amdgpu_metadata
